;; amdgpu-corpus repo=ROCm/rocFFT kind=compiled arch=gfx906 opt=O3
	.text
	.amdgcn_target "amdgcn-amd-amdhsa--gfx906"
	.amdhsa_code_object_version 6
	.protected	bluestein_single_back_len1323_dim1_dp_op_CI_CI ; -- Begin function bluestein_single_back_len1323_dim1_dp_op_CI_CI
	.globl	bluestein_single_back_len1323_dim1_dp_op_CI_CI
	.p2align	8
	.type	bluestein_single_back_len1323_dim1_dp_op_CI_CI,@function
bluestein_single_back_len1323_dim1_dp_op_CI_CI: ; @bluestein_single_back_len1323_dim1_dp_op_CI_CI
; %bb.0:
	s_load_dwordx4 s[8:11], s[4:5], 0x28
	v_mul_u32_u24_e32 v1, 0x15b, v0
	v_add_u32_sdwa v156, s6, v1 dst_sel:DWORD dst_unused:UNUSED_PAD src0_sel:DWORD src1_sel:WORD_1
	v_mov_b32_e32 v157, 0
	s_waitcnt lgkmcnt(0)
	v_cmp_gt_u64_e32 vcc, s[8:9], v[156:157]
	s_and_saveexec_b64 s[0:1], vcc
	s_cbranch_execz .LBB0_31
; %bb.1:
	s_load_dwordx4 s[12:15], s[4:5], 0x18
	s_load_dwordx2 s[16:17], s[4:5], 0x0
	s_movk_i32 s6, 0xbd
	v_mul_lo_u16_sdwa v1, v1, s6 dst_sel:DWORD dst_unused:UNUSED_PAD src0_sel:WORD_1 src1_sel:DWORD
	v_sub_u16_e32 v160, v0, v1
	s_waitcnt lgkmcnt(0)
	s_load_dwordx4 s[0:3], s[12:13], 0x0
	v_lshlrev_b32_e32 v157, 4, v160
	s_waitcnt lgkmcnt(0)
	v_mad_u64_u32 v[0:1], s[6:7], s2, v156, 0
	v_mad_u64_u32 v[2:3], s[6:7], s0, v160, 0
	s_mul_i32 s6, s1, 0x1b9
	s_mul_hi_u32 s7, s0, 0x1b9
	v_mad_u64_u32 v[4:5], s[2:3], s3, v156, v[1:2]
	s_add_i32 s7, s7, s6
	s_mul_i32 s6, s0, 0x1b9
	v_mad_u64_u32 v[5:6], s[2:3], s1, v160, v[3:4]
	v_mov_b32_e32 v1, v4
	v_lshlrev_b64 v[0:1], 4, v[0:1]
	v_mov_b32_e32 v6, s11
	v_mov_b32_e32 v3, v5
	v_add_co_u32_e32 v4, vcc, s10, v0
	v_addc_co_u32_e32 v5, vcc, v6, v1, vcc
	v_lshlrev_b64 v[0:1], 4, v[2:3]
	v_mov_b32_e32 v2, s17
	v_add_co_u32_e32 v0, vcc, v4, v0
	v_add_co_u32_e64 v158, s[2:3], s16, v157
	v_addc_co_u32_e32 v1, vcc, v5, v1, vcc
	v_addc_co_u32_e64 v159, vcc, 0, v2, s[2:3]
	s_lshl_b64 s[12:13], s[6:7], 4
	v_mov_b32_e32 v18, s13
	v_add_co_u32_e32 v4, vcc, s12, v0
	v_addc_co_u32_e32 v5, vcc, v1, v18, vcc
	s_movk_i32 s6, 0x1000
	global_load_dwordx4 v[30:33], v[0:1], off
	global_load_dwordx4 v[34:37], v[4:5], off
	v_add_co_u32_e32 v0, vcc, s6, v158
	v_addc_co_u32_e32 v1, vcc, 0, v159, vcc
	v_add_co_u32_e32 v8, vcc, s12, v4
	v_addc_co_u32_e32 v9, vcc, v5, v18, vcc
	s_movk_i32 s6, 0x3000
	v_add_co_u32_e32 v24, vcc, s6, v158
	s_mul_hi_u32 s6, s0, 0xfffffd4b
	s_mulk_i32 s1, 0xfd4b
	s_sub_i32 s6, s6, s0
	s_add_i32 s1, s6, s1
	s_mulk_i32 s0, 0xfd4b
	v_addc_co_u32_e32 v25, vcc, 0, v159, vcc
	s_lshl_b64 s[18:19], s[0:1], 4
	v_mov_b32_e32 v10, s19
	v_add_co_u32_e32 v12, vcc, s18, v8
	v_addc_co_u32_e32 v13, vcc, v9, v10, vcc
	v_add_co_u32_e32 v16, vcc, s12, v12
	global_load_dwordx4 v[0:3], v[0:1], off offset:2960
	v_addc_co_u32_e32 v17, vcc, v13, v18, vcc
	global_load_dwordx4 v[38:41], v[8:9], off
	global_load_dwordx4 v[4:7], v[24:25], off offset:1824
	global_load_dwordx4 v[20:23], v157, s[16:17]
	s_nop 0
	global_load_dwordx4 v[8:11], v157, s[16:17] offset:3024
	s_movk_i32 s0, 0x2000
	global_load_dwordx4 v[42:45], v[12:13], off
	global_load_dwordx4 v[46:49], v[16:17], off
	v_add_co_u32_e32 v12, vcc, s0, v158
	v_addc_co_u32_e32 v13, vcc, 0, v159, vcc
	v_add_co_u32_e32 v28, vcc, s12, v16
	v_addc_co_u32_e32 v29, vcc, v17, v18, vcc
	s_movk_i32 s0, 0x4000
	v_add_co_u32_e32 v26, vcc, s0, v158
	global_load_dwordx4 v[12:15], v[12:13], off offset:1888
	v_addc_co_u32_e32 v27, vcc, 0, v159, vcc
	global_load_dwordx4 v[16:19], v[26:27], off offset:752
	global_load_dwordx4 v[50:53], v[28:29], off
	s_load_dwordx2 s[6:7], s[4:5], 0x38
	s_load_dwordx4 s[8:11], s[14:15], 0x0
	v_cmp_gt_u16_e64 s[0:1], 63, v160
	s_waitcnt vmcnt(9)
	v_mul_f64 v[58:59], v[36:37], v[2:3]
	v_mul_f64 v[60:61], v[34:35], v[2:3]
	s_waitcnt vmcnt(6)
	v_mul_f64 v[54:55], v[32:33], v[22:23]
	v_mul_f64 v[56:57], v[30:31], v[22:23]
	v_mul_f64 v[62:63], v[40:41], v[6:7]
	v_mul_f64 v[64:65], v[38:39], v[6:7]
	s_waitcnt vmcnt(4)
	v_mul_f64 v[66:67], v[44:45], v[10:11]
	v_mul_f64 v[68:69], v[42:43], v[10:11]
	v_fma_f64 v[34:35], v[34:35], v[0:1], v[58:59]
	v_fma_f64 v[36:37], v[36:37], v[0:1], -v[60:61]
	v_fma_f64 v[30:31], v[30:31], v[20:21], v[54:55]
	v_fma_f64 v[32:33], v[32:33], v[20:21], -v[56:57]
	;; [unrolled: 2-line block ×4, first 2 shown]
	s_waitcnt vmcnt(2)
	v_mul_f64 v[70:71], v[48:49], v[14:15]
	v_mul_f64 v[72:73], v[46:47], v[14:15]
	s_waitcnt vmcnt(0)
	v_mul_f64 v[54:55], v[52:53], v[18:19]
	v_mul_f64 v[56:57], v[50:51], v[18:19]
	v_fma_f64 v[46:47], v[46:47], v[12:13], v[70:71]
	v_fma_f64 v[48:49], v[48:49], v[12:13], -v[72:73]
	v_fma_f64 v[50:51], v[50:51], v[16:17], v[54:55]
	v_fma_f64 v[52:53], v[52:53], v[16:17], -v[56:57]
	ds_write_b128 v157, v[30:33]
	ds_write_b128 v157, v[34:37] offset:7056
	ds_write_b128 v157, v[38:41] offset:14112
	;; [unrolled: 1-line block ×5, first 2 shown]
	s_and_saveexec_b64 s[14:15], s[0:1]
	s_cbranch_execz .LBB0_3
; %bb.2:
	v_mov_b32_e32 v30, s19
	v_add_co_u32_e32 v36, vcc, s18, v28
	v_addc_co_u32_e32 v37, vcc, v29, v30, vcc
	v_add_co_u32_e32 v32, vcc, 0x1000, v158
	v_addc_co_u32_e32 v33, vcc, 0, v159, vcc
	v_mov_b32_e32 v42, s13
	v_add_co_u32_e32 v40, vcc, s12, v36
	global_load_dwordx4 v[28:31], v[36:37], off
	v_addc_co_u32_e32 v41, vcc, v37, v42, vcc
	global_load_dwordx4 v[32:35], v[32:33], off offset:1952
	v_add_co_u32_e32 v52, vcc, s12, v40
	global_load_dwordx4 v[36:39], v[40:41], off
	v_addc_co_u32_e32 v53, vcc, v41, v42, vcc
	global_load_dwordx4 v[40:43], v[24:25], off offset:816
	global_load_dwordx4 v[44:47], v[26:27], off offset:3776
	global_load_dwordx4 v[48:51], v[52:53], off
	s_waitcnt vmcnt(4)
	v_mul_f64 v[24:25], v[30:31], v[34:35]
	v_mul_f64 v[26:27], v[28:29], v[34:35]
	s_waitcnt vmcnt(2)
	v_mul_f64 v[34:35], v[38:39], v[42:43]
	v_mul_f64 v[42:43], v[36:37], v[42:43]
	;; [unrolled: 3-line block ×3, first 2 shown]
	v_fma_f64 v[24:25], v[28:29], v[32:33], v[24:25]
	v_fma_f64 v[26:27], v[30:31], v[32:33], -v[26:27]
	v_fma_f64 v[28:29], v[36:37], v[40:41], v[34:35]
	v_fma_f64 v[30:31], v[38:39], v[40:41], -v[42:43]
	;; [unrolled: 2-line block ×3, first 2 shown]
	ds_write_b128 v157, v[24:27] offset:6048
	ds_write_b128 v157, v[28:31] offset:13104
	;; [unrolled: 1-line block ×3, first 2 shown]
.LBB0_3:
	s_or_b64 exec, exec, s[14:15]
	s_waitcnt lgkmcnt(0)
	s_barrier
	ds_read_b128 v[52:55], v157
	ds_read_b128 v[28:31], v157 offset:3024
	ds_read_b128 v[56:59], v157 offset:7056
	;; [unrolled: 1-line block ×5, first 2 shown]
                                        ; implicit-def: $vgpr32_vgpr33
                                        ; implicit-def: $vgpr40_vgpr41
                                        ; implicit-def: $vgpr44_vgpr45
	s_and_saveexec_b64 s[12:13], s[0:1]
	s_cbranch_execz .LBB0_5
; %bb.4:
	ds_read_b128 v[32:35], v157 offset:6048
	ds_read_b128 v[40:43], v157 offset:13104
	;; [unrolled: 1-line block ×3, first 2 shown]
.LBB0_5:
	s_or_b64 exec, exec, s[12:13]
	s_waitcnt lgkmcnt(1)
	v_add_f64 v[60:61], v[56:57], v[48:49]
	v_add_f64 v[62:63], v[52:53], v[56:57]
	v_add_f64 v[68:69], v[58:59], v[50:51]
	v_add_f64 v[66:67], v[58:59], -v[50:51]
	s_waitcnt lgkmcnt(0)
	v_add_f64 v[70:71], v[36:37], v[24:25]
	v_add_f64 v[58:59], v[54:55], v[58:59]
	s_movk_i32 s14, 0xbd
	s_movk_i32 s15, 0x17a
	v_fma_f64 v[52:53], v[60:61], -0.5, v[52:53]
	v_add_f64 v[60:61], v[62:63], v[48:49]
	v_fma_f64 v[54:55], v[68:69], -0.5, v[54:55]
	v_add_f64 v[48:49], v[56:57], -v[48:49]
	s_mov_b32 s12, 0xe8584caa
	s_mov_b32 s13, 0x3febb67a
	v_add_co_u32_e32 v109, vcc, s14, v160
	v_add_co_u32_e32 v108, vcc, s15, v160
	s_mov_b32 s15, 0xbfebb67a
	s_mov_b32 s14, s12
	v_fma_f64 v[64:65], v[66:67], s[12:13], v[52:53]
	v_add_f64 v[56:57], v[28:29], v[36:37]
	v_fma_f64 v[74:75], v[70:71], -0.5, v[28:29]
	v_fma_f64 v[68:69], v[66:67], s[14:15], v[52:53]
	v_add_f64 v[62:63], v[58:59], v[50:51]
	v_fma_f64 v[66:67], v[48:49], s[14:15], v[54:55]
	v_add_f64 v[50:51], v[38:39], v[26:27]
	;; [unrolled: 2-line block ×3, first 2 shown]
	v_add_f64 v[52:53], v[42:43], v[46:47]
	v_add_f64 v[76:77], v[38:39], -v[26:27]
	v_add_f64 v[28:29], v[56:57], v[24:25]
	v_add_f64 v[38:39], v[30:31], v[38:39]
	v_add_f64 v[24:25], v[36:37], -v[24:25]
	v_fma_f64 v[50:51], v[50:51], -0.5, v[30:31]
	v_add_f64 v[36:37], v[32:33], v[40:41]
	v_fma_f64 v[32:33], v[48:49], -0.5, v[32:33]
	v_add_f64 v[54:55], v[42:43], -v[46:47]
	v_add_f64 v[42:43], v[34:35], v[42:43]
	v_fma_f64 v[34:35], v[52:53], -0.5, v[34:35]
	v_add_f64 v[40:41], v[40:41], -v[44:45]
	v_fma_f64 v[72:73], v[76:77], s[12:13], v[74:75]
	v_fma_f64 v[76:77], v[76:77], s[14:15], v[74:75]
	v_add_f64 v[30:31], v[38:39], v[26:27]
	v_fma_f64 v[74:75], v[24:25], s[14:15], v[50:51]
	v_fma_f64 v[78:79], v[24:25], s[12:13], v[50:51]
	v_add_f64 v[48:49], v[36:37], v[44:45]
	v_fma_f64 v[52:53], v[54:55], s[12:13], v[32:33]
	v_fma_f64 v[56:57], v[54:55], s[14:15], v[32:33]
	v_add_f64 v[50:51], v[42:43], v[46:47]
	v_fma_f64 v[54:55], v[40:41], s[14:15], v[34:35]
	v_fma_f64 v[58:59], v[40:41], s[12:13], v[34:35]
	s_load_dwordx2 s[4:5], s[4:5], 0x8
	v_mul_lo_u16_e32 v24, 3, v160
	v_lshlrev_b32_e32 v161, 4, v24
	v_mul_u32_u24_e32 v24, 3, v109
	v_lshlrev_b32_e32 v162, 4, v24
	v_mul_u32_u24_e32 v163, 3, v108
	s_waitcnt lgkmcnt(0)
	s_barrier
	ds_write_b128 v161, v[60:63]
	ds_write_b128 v161, v[64:67] offset:16
	ds_write_b128 v161, v[68:71] offset:32
	ds_write_b128 v162, v[28:31]
	ds_write_b128 v162, v[72:75] offset:16
	ds_write_b128 v162, v[76:79] offset:32
	s_and_saveexec_b64 s[12:13], s[0:1]
	s_cbranch_execz .LBB0_7
; %bb.6:
	v_lshlrev_b32_e32 v24, 4, v163
	ds_write_b128 v24, v[48:51]
	ds_write_b128 v24, v[52:55] offset:16
	ds_write_b128 v24, v[56:59] offset:32
.LBB0_7:
	s_or_b64 exec, exec, s[12:13]
	s_waitcnt lgkmcnt(0)
	s_barrier
	ds_read_b128 v[64:67], v157
	ds_read_b128 v[60:63], v157 offset:3024
	ds_read_b128 v[76:79], v157 offset:7056
	;; [unrolled: 1-line block ×5, first 2 shown]
	s_and_saveexec_b64 s[12:13], s[0:1]
	s_cbranch_execz .LBB0_9
; %bb.8:
	ds_read_b128 v[48:51], v157 offset:6048
	ds_read_b128 v[52:55], v157 offset:13104
	;; [unrolled: 1-line block ×3, first 2 shown]
.LBB0_9:
	s_or_b64 exec, exec, s[12:13]
	s_movk_i32 s12, 0xab
	v_mul_lo_u16_sdwa v24, v160, s12 dst_sel:DWORD dst_unused:UNUSED_PAD src0_sel:BYTE_0 src1_sel:DWORD
	v_lshrrev_b16_e32 v84, 9, v24
	v_mul_lo_u16_e32 v24, 3, v84
	v_sub_u16_e32 v24, v160, v24
	v_and_b32_e32 v85, 0xff, v24
	v_lshlrev_b32_e32 v32, 5, v85
	s_mov_b32 s12, 0xaaab
	global_load_dwordx4 v[24:27], v32, s[4:5] offset:16
	global_load_dwordx4 v[28:31], v32, s[4:5]
	v_mul_u32_u24_sdwa v32, v109, s12 dst_sel:DWORD dst_unused:UNUSED_PAD src0_sel:WORD_0 src1_sel:DWORD
	v_lshrrev_b32_e32 v86, 17, v32
	v_mul_lo_u16_e32 v32, 3, v86
	v_sub_u16_e32 v87, v109, v32
	v_lshlrev_b16_e32 v32, 1, v87
	v_lshlrev_b32_e32 v40, 4, v32
	global_load_dwordx4 v[36:39], v40, s[4:5]
	global_load_dwordx4 v[32:35], v40, s[4:5] offset:16
	v_mul_u32_u24_sdwa v40, v108, s12 dst_sel:DWORD dst_unused:UNUSED_PAD src0_sel:WORD_0 src1_sel:DWORD
	v_lshrrev_b32_e32 v114, 17, v40
	v_mul_lo_u16_e32 v40, 3, v114
	v_sub_u16_e32 v115, v108, v40
	v_lshlrev_b16_e32 v40, 1, v115
	v_lshlrev_b32_e32 v88, 4, v40
	global_load_dwordx4 v[44:47], v88, s[4:5]
	global_load_dwordx4 v[40:43], v88, s[4:5] offset:16
	v_mul_u32_u24_e32 v84, 9, v84
	v_mad_legacy_u16 v86, v86, 9, v87
	v_add_lshl_u32 v165, v84, v85, 4
	v_lshlrev_b32_e32 v164, 4, v86
	s_mov_b32 s12, 0xe8584caa
	s_mov_b32 s13, 0x3febb67a
	s_mov_b32 s14, s12
	v_mad_legacy_u16 v166, v114, 9, v115
	s_waitcnt vmcnt(0) lgkmcnt(0)
	s_barrier
	v_mul_f64 v[88:89], v[82:83], v[26:27]
	v_mul_f64 v[84:85], v[78:79], v[30:31]
	;; [unrolled: 1-line block ×8, first 2 shown]
	v_fma_f64 v[76:77], v[76:77], v[28:29], -v[84:85]
	v_fma_f64 v[78:79], v[78:79], v[28:29], v[86:87]
	v_fma_f64 v[80:81], v[80:81], v[24:25], -v[88:89]
	v_mul_f64 v[100:101], v[54:55], v[46:47]
	v_mul_f64 v[102:103], v[52:53], v[46:47]
	;; [unrolled: 1-line block ×4, first 2 shown]
	v_fma_f64 v[82:83], v[82:83], v[24:25], v[90:91]
	v_fma_f64 v[68:69], v[68:69], v[36:37], -v[92:93]
	v_fma_f64 v[72:73], v[72:73], v[32:33], -v[96:97]
	v_fma_f64 v[70:71], v[70:71], v[36:37], v[94:95]
	v_fma_f64 v[52:53], v[52:53], v[44:45], -v[100:101]
	v_fma_f64 v[54:55], v[54:55], v[44:45], v[102:103]
	;; [unrolled: 2-line block ×3, first 2 shown]
	v_fma_f64 v[74:75], v[74:75], v[32:33], v[98:99]
	v_add_f64 v[56:57], v[64:65], v[76:77]
	v_add_f64 v[58:59], v[66:67], v[78:79]
	v_add_f64 v[88:89], v[76:77], v[80:81]
	v_add_f64 v[90:91], v[78:79], -v[82:83]
	v_add_f64 v[78:79], v[78:79], v[82:83]
	v_add_f64 v[94:95], v[68:69], v[72:73]
	;; [unrolled: 1-line block ×4, first 2 shown]
	v_add_f64 v[96:97], v[70:71], -v[74:75]
	v_add_f64 v[98:99], v[62:63], v[70:71]
	v_add_f64 v[70:71], v[70:71], v[74:75]
	v_add_f64 v[76:77], v[76:77], -v[80:81]
	v_add_f64 v[92:93], v[60:61], v[68:69]
	v_add_f64 v[100:101], v[68:69], -v[72:73]
	v_add_f64 v[68:69], v[48:49], v[52:53]
	v_add_f64 v[104:105], v[50:51], v[54:55]
	v_add_f64 v[110:111], v[54:55], -v[86:87]
	v_add_f64 v[112:113], v[52:53], -v[84:85]
	v_add_f64 v[52:53], v[56:57], v[80:81]
	v_add_f64 v[54:55], v[58:59], v[82:83]
	v_fma_f64 v[64:65], v[88:89], -0.5, v[64:65]
	v_fma_f64 v[66:67], v[78:79], -0.5, v[66:67]
	;; [unrolled: 1-line block ×6, first 2 shown]
	v_add_f64 v[56:57], v[92:93], v[72:73]
	v_add_f64 v[58:59], v[98:99], v[74:75]
	;; [unrolled: 1-line block ×4, first 2 shown]
	v_fma_f64 v[48:49], v[90:91], s[12:13], v[64:65]
	v_fma_f64 v[60:61], v[90:91], s[14:15], v[64:65]
	;; [unrolled: 1-line block ×12, first 2 shown]
	ds_write_b128 v165, v[52:55]
	ds_write_b128 v165, v[48:51] offset:48
	ds_write_b128 v165, v[60:63] offset:96
	ds_write_b128 v164, v[56:59]
	ds_write_b128 v164, v[64:67] offset:48
	ds_write_b128 v164, v[68:71] offset:96
	s_and_saveexec_b64 s[12:13], s[0:1]
	s_cbranch_execz .LBB0_11
; %bb.10:
	v_lshlrev_b32_e32 v48, 4, v166
	ds_write_b128 v48, v[72:75]
	ds_write_b128 v48, v[76:79] offset:48
	ds_write_b128 v48, v[80:83] offset:96
.LBB0_11:
	s_or_b64 exec, exec, s[12:13]
	s_waitcnt lgkmcnt(0)
	s_barrier
	ds_read_b128 v[88:91], v157
	ds_read_b128 v[84:87], v157 offset:3024
	ds_read_b128 v[100:103], v157 offset:7056
	;; [unrolled: 1-line block ×5, first 2 shown]
	s_and_saveexec_b64 s[12:13], s[0:1]
	s_cbranch_execz .LBB0_13
; %bb.12:
	ds_read_b128 v[72:75], v157 offset:6048
	ds_read_b128 v[76:79], v157 offset:13104
	;; [unrolled: 1-line block ×3, first 2 shown]
.LBB0_13:
	s_or_b64 exec, exec, s[12:13]
	v_mov_b32_e32 v48, 57
	v_mul_lo_u16_sdwa v48, v160, v48 dst_sel:DWORD dst_unused:UNUSED_PAD src0_sel:BYTE_0 src1_sel:DWORD
	v_lshrrev_b16_e32 v110, 9, v48
	v_mul_lo_u16_e32 v48, 9, v110
	v_sub_u16_e32 v48, v160, v48
	v_and_b32_e32 v111, 0xff, v48
	v_lshlrev_b32_e32 v48, 5, v111
	s_mov_b32 s12, 0xe38f
	global_load_dwordx4 v[56:59], v48, s[4:5] offset:112
	global_load_dwordx4 v[60:63], v48, s[4:5] offset:96
	v_mul_u32_u24_sdwa v48, v109, s12 dst_sel:DWORD dst_unused:UNUSED_PAD src0_sel:WORD_0 src1_sel:DWORD
	v_lshrrev_b32_e32 v112, 19, v48
	v_mul_lo_u16_e32 v48, 9, v112
	v_sub_u16_e32 v113, v109, v48
	v_lshlrev_b16_e32 v48, 5, v113
	v_mov_b32_e32 v50, s5
	v_add_co_u32_e32 v48, vcc, s4, v48
	v_addc_co_u32_e32 v49, vcc, 0, v50, vcc
	global_load_dwordx4 v[64:67], v[48:49], off offset:112
	global_load_dwordx4 v[68:71], v[48:49], off offset:96
	v_mul_u32_u24_sdwa v48, v108, s12 dst_sel:DWORD dst_unused:UNUSED_PAD src0_sel:WORD_0 src1_sel:DWORD
	v_lshrrev_b32_e32 v134, 19, v48
	v_mul_lo_u16_e32 v48, 9, v134
	v_sub_u16_e32 v135, v108, v48
	v_lshlrev_b16_e32 v48, 5, v135
	v_add_co_u32_e32 v108, vcc, s4, v48
	v_addc_co_u32_e32 v109, vcc, 0, v50, vcc
	global_load_dwordx4 v[52:55], v[108:109], off offset:96
	global_load_dwordx4 v[48:51], v[108:109], off offset:112
	v_mul_u32_u24_e32 v108, 27, v110
	v_mad_legacy_u16 v109, v112, 27, v113
	v_add_lshl_u32 v168, v108, v111, 4
	v_lshlrev_b32_e32 v167, 4, v109
	s_mov_b32 s12, 0xe8584caa
	s_mov_b32 s13, 0x3febb67a
	;; [unrolled: 1-line block ×3, first 2 shown]
	v_mad_legacy_u16 v169, v134, 27, v135
	s_waitcnt vmcnt(0) lgkmcnt(0)
	s_barrier
	v_mul_f64 v[112:113], v[106:107], v[58:59]
	v_mul_f64 v[108:109], v[102:103], v[62:63]
	;; [unrolled: 1-line block ×4, first 2 shown]
	v_fma_f64 v[104:105], v[104:105], v[56:57], -v[112:113]
	v_fma_f64 v[100:101], v[100:101], v[60:61], -v[108:109]
	v_fma_f64 v[102:103], v[102:103], v[60:61], v[110:111]
	v_mul_f64 v[120:121], v[98:99], v[66:67]
	v_mul_f64 v[116:117], v[94:95], v[70:71]
	;; [unrolled: 1-line block ×4, first 2 shown]
	v_fma_f64 v[106:107], v[106:107], v[56:57], v[114:115]
	v_add_f64 v[114:115], v[90:91], v[102:103]
	v_fma_f64 v[110:111], v[96:97], v[64:65], -v[120:121]
	v_fma_f64 v[108:109], v[92:93], v[68:69], -v[116:117]
	v_mul_f64 v[124:125], v[78:79], v[54:55]
	v_mul_f64 v[126:127], v[76:77], v[54:55]
	v_mul_f64 v[128:129], v[82:83], v[50:51]
	v_mul_f64 v[130:131], v[80:81], v[50:51]
	v_fma_f64 v[94:95], v[94:95], v[68:69], v[118:119]
	v_fma_f64 v[98:99], v[98:99], v[64:65], v[122:123]
	v_add_f64 v[96:97], v[100:101], v[104:105]
	v_add_f64 v[116:117], v[84:85], v[108:109]
	v_fma_f64 v[76:77], v[76:77], v[52:53], -v[124:125]
	v_fma_f64 v[92:93], v[78:79], v[52:53], v[126:127]
	v_fma_f64 v[78:79], v[80:81], v[48:49], -v[128:129]
	v_fma_f64 v[80:81], v[82:83], v[48:49], v[130:131]
	v_add_f64 v[82:83], v[88:89], v[100:101]
	v_add_f64 v[118:119], v[108:109], v[110:111]
	v_add_f64 v[112:113], v[102:103], -v[106:107]
	v_add_f64 v[102:103], v[102:103], v[106:107]
	v_add_f64 v[124:125], v[94:95], v[98:99]
	v_add_f64 v[100:101], v[100:101], -v[104:105]
	;; [unrolled: 3-line block ×3, first 2 shown]
	v_add_f64 v[122:123], v[86:87], v[94:95]
	v_add_f64 v[128:129], v[92:93], -v[80:81]
	v_add_f64 v[132:133], v[76:77], -v[78:79]
	v_add_f64 v[94:95], v[82:83], v[104:105]
	v_fma_f64 v[88:89], v[96:97], -0.5, v[88:89]
	v_add_f64 v[96:97], v[114:115], v[106:107]
	v_add_f64 v[82:83], v[116:117], v[110:111]
	v_fma_f64 v[104:105], v[118:119], -0.5, v[84:85]
	v_fma_f64 v[114:115], v[126:127], -0.5, v[72:73]
	;; [unrolled: 1-line block ×4, first 2 shown]
	v_add_f64 v[108:109], v[108:109], -v[110:111]
	v_fma_f64 v[110:111], v[124:125], -0.5, v[86:87]
	v_add_f64 v[84:85], v[122:123], v[98:99]
	v_fma_f64 v[86:87], v[112:113], s[12:13], v[88:89]
	v_fma_f64 v[102:103], v[120:121], s[12:13], v[104:105]
	;; [unrolled: 1-line block ×12, first 2 shown]
	ds_write_b128 v168, v[94:97]
	ds_write_b128 v168, v[86:89] offset:144
	ds_write_b128 v168, v[98:101] offset:288
	ds_write_b128 v167, v[82:85]
	ds_write_b128 v167, v[102:105] offset:144
	ds_write_b128 v167, v[106:109] offset:288
	s_and_saveexec_b64 s[12:13], s[0:1]
	s_cbranch_execz .LBB0_15
; %bb.14:
	v_add_f64 v[74:75], v[74:75], v[92:93]
	v_add_f64 v[72:73], v[72:73], v[76:77]
	v_lshlrev_b32_e32 v76, 4, v169
	v_add_f64 v[74:75], v[74:75], v[80:81]
	v_add_f64 v[72:73], v[72:73], v[78:79]
	ds_write_b128 v76, v[120:123] offset:144
	ds_write_b128 v76, v[72:75]
	ds_write_b128 v76, v[124:127] offset:288
.LBB0_15:
	s_or_b64 exec, exec, s[12:13]
	v_mov_b32_e32 v72, 19
	v_mul_lo_u16_sdwa v72, v160, v72 dst_sel:DWORD dst_unused:UNUSED_PAD src0_sel:BYTE_0 src1_sel:DWORD
	v_lshrrev_b16_e32 v134, 9, v72
	v_mul_lo_u16_e32 v72, 27, v134
	v_sub_u16_e32 v72, v160, v72
	v_mov_b32_e32 v133, s5
	v_and_b32_e32 v135, 0xff, v72
	s_movk_i32 s16, 0x60
	v_mov_b32_e32 v132, s4
	v_mad_u64_u32 v[96:97], s[4:5], v135, s16, v[132:133]
	s_waitcnt lgkmcnt(0)
	s_barrier
	global_load_dwordx4 v[84:87], v[96:97], off offset:384
	global_load_dwordx4 v[80:83], v[96:97], off offset:400
	global_load_dwordx4 v[76:79], v[96:97], off offset:416
	global_load_dwordx4 v[72:75], v[96:97], off offset:432
	global_load_dwordx4 v[88:91], v[96:97], off offset:464
	global_load_dwordx4 v[92:95], v[96:97], off offset:448
	ds_read_b128 v[96:99], v157
	ds_read_b128 v[100:103], v157 offset:3024
	ds_read_b128 v[104:107], v157 offset:6048
	;; [unrolled: 1-line block ×6, first 2 shown]
	v_mul_u32_u24_e32 v134, 0xbd, v134
	v_add_lshl_u32 v170, v134, v135, 4
	s_mov_b32 s12, 0x37e14327
	s_mov_b32 s4, 0x36b3c0b5
	;; [unrolled: 1-line block ×20, first 2 shown]
	s_waitcnt vmcnt(0) lgkmcnt(0)
	s_barrier
	s_movk_i32 s33, 0x6000
	v_mul_f64 v[134:135], v[102:103], v[86:87]
	v_mul_f64 v[136:137], v[100:101], v[86:87]
	;; [unrolled: 1-line block ×12, first 2 shown]
	v_fma_f64 v[100:101], v[100:101], v[84:85], -v[134:135]
	v_fma_f64 v[102:103], v[102:103], v[84:85], v[136:137]
	v_fma_f64 v[104:105], v[104:105], v[80:81], -v[138:139]
	v_fma_f64 v[106:107], v[106:107], v[80:81], v[140:141]
	;; [unrolled: 2-line block ×6, first 2 shown]
	v_add_f64 v[134:135], v[100:101], v[128:129]
	v_add_f64 v[136:137], v[102:103], v[130:131]
	v_add_f64 v[100:101], v[100:101], -v[128:129]
	v_add_f64 v[102:103], v[102:103], -v[130:131]
	v_add_f64 v[128:129], v[104:105], v[116:117]
	v_add_f64 v[130:131], v[106:107], v[118:119]
	v_add_f64 v[104:105], v[104:105], -v[116:117]
	v_add_f64 v[106:107], v[106:107], -v[118:119]
	;; [unrolled: 4-line block ×4, first 2 shown]
	v_add_f64 v[134:135], v[134:135], -v[116:117]
	v_add_f64 v[136:137], v[136:137], -v[118:119]
	;; [unrolled: 1-line block ×4, first 2 shown]
	v_add_f64 v[142:143], v[108:109], v[104:105]
	v_add_f64 v[144:145], v[110:111], v[106:107]
	v_add_f64 v[146:147], v[108:109], -v[104:105]
	v_add_f64 v[148:149], v[110:111], -v[106:107]
	v_add_f64 v[112:113], v[116:117], v[112:113]
	v_add_f64 v[114:115], v[118:119], v[114:115]
	v_add_f64 v[104:105], v[104:105], -v[100:101]
	v_add_f64 v[106:107], v[106:107], -v[102:103]
	;; [unrolled: 1-line block ×4, first 2 shown]
	v_add_f64 v[100:101], v[142:143], v[100:101]
	v_add_f64 v[102:103], v[144:145], v[102:103]
	v_mul_f64 v[116:117], v[134:135], s[12:13]
	v_mul_f64 v[118:119], v[136:137], s[12:13]
	;; [unrolled: 1-line block ×6, first 2 shown]
	v_add_f64 v[96:97], v[96:97], v[112:113]
	v_add_f64 v[98:99], v[98:99], v[114:115]
	v_mul_f64 v[146:147], v[104:105], s[14:15]
	v_mul_f64 v[148:149], v[106:107], s[14:15]
	v_fma_f64 v[128:129], v[128:129], s[4:5], v[116:117]
	v_fma_f64 v[130:131], v[130:131], s[4:5], v[118:119]
	v_fma_f64 v[134:135], v[138:139], s[22:23], -v[134:135]
	v_fma_f64 v[136:137], v[140:141], s[22:23], -v[136:137]
	;; [unrolled: 1-line block ×4, first 2 shown]
	v_fma_f64 v[138:139], v[108:109], s[26:27], v[142:143]
	v_fma_f64 v[140:141], v[110:111], s[26:27], v[144:145]
	;; [unrolled: 1-line block ×4, first 2 shown]
	v_fma_f64 v[108:109], v[108:109], s[28:29], -v[146:147]
	v_fma_f64 v[110:111], v[110:111], s[28:29], -v[148:149]
	;; [unrolled: 1-line block ×4, first 2 shown]
	v_fma_f64 v[138:139], v[100:101], s[30:31], v[138:139]
	v_fma_f64 v[140:141], v[102:103], s[30:31], v[140:141]
	v_add_f64 v[128:129], v[128:129], v[112:113]
	v_add_f64 v[130:131], v[130:131], v[114:115]
	v_fma_f64 v[146:147], v[100:101], s[30:31], v[108:109]
	v_fma_f64 v[148:149], v[102:103], s[30:31], v[110:111]
	v_add_f64 v[116:117], v[116:117], v[112:113]
	v_add_f64 v[118:119], v[118:119], v[114:115]
	;; [unrolled: 4-line block ×3, first 2 shown]
	v_add_f64 v[100:101], v[140:141], v[128:129]
	v_add_f64 v[102:103], v[130:131], -v[138:139]
	v_add_f64 v[104:105], v[148:149], v[116:117]
	v_add_f64 v[106:107], v[118:119], -v[146:147]
	v_add_f64 v[116:117], v[116:117], -v[148:149]
	v_add_f64 v[118:119], v[146:147], v[118:119]
	v_add_f64 v[108:109], v[112:113], -v[144:145]
	v_add_f64 v[110:111], v[142:143], v[114:115]
	v_add_f64 v[112:113], v[144:145], v[112:113]
	v_add_f64 v[114:115], v[114:115], -v[142:143]
	v_add_f64 v[128:129], v[128:129], -v[140:141]
	v_add_f64 v[130:131], v[138:139], v[130:131]
	ds_write_b128 v170, v[96:99]
	ds_write_b128 v170, v[100:103] offset:432
	ds_write_b128 v170, v[104:107] offset:864
	ds_write_b128 v170, v[108:111] offset:1296
	ds_write_b128 v170, v[112:115] offset:1728
	ds_write_b128 v170, v[116:119] offset:2160
	ds_write_b128 v170, v[128:131] offset:2592
	v_mad_u64_u32 v[116:117], s[34:35], v160, s16, v[132:133]
	s_waitcnt lgkmcnt(0)
	s_barrier
	global_load_dwordx4 v[108:111], v[116:117], off offset:2976
	global_load_dwordx4 v[104:107], v[116:117], off offset:2992
	;; [unrolled: 1-line block ×5, first 2 shown]
	s_nop 0
	global_load_dwordx4 v[116:119], v[116:117], off offset:3040
	v_mov_b32_e32 v128, s17
	v_addc_co_u32_e64 v197, vcc, 0, v128, s[2:3]
	ds_read_b128 v[128:131], v157
	ds_read_b128 v[134:137], v157 offset:3024
	ds_read_b128 v[138:141], v157 offset:6048
	;; [unrolled: 1-line block ×6, first 2 shown]
	s_movk_i32 s16, 0x52b0
	v_add_co_u32_e32 v132, vcc, s16, v158
	s_movk_i32 s17, 0x5000
	v_addc_co_u32_e32 v133, vcc, 0, v197, vcc
	s_mov_b32 s34, 0x8000
	s_movk_i32 s2, 0x7000
	s_waitcnt vmcnt(5) lgkmcnt(5)
	v_mul_f64 v[154:155], v[136:137], v[110:111]
	v_mul_f64 v[175:176], v[134:135], v[110:111]
	s_waitcnt vmcnt(4) lgkmcnt(4)
	v_mul_f64 v[177:178], v[140:141], v[106:107]
	v_mul_f64 v[179:180], v[138:139], v[106:107]
	;; [unrolled: 3-line block ×3, first 2 shown]
	s_waitcnt vmcnt(0)
	v_mul_f64 v[193:194], v[152:153], v[118:119]
	v_mul_f64 v[195:196], v[150:151], v[118:119]
	;; [unrolled: 1-line block ×6, first 2 shown]
	v_fma_f64 v[134:135], v[134:135], v[108:109], -v[154:155]
	v_fma_f64 v[136:137], v[136:137], v[108:109], v[175:176]
	v_fma_f64 v[138:139], v[138:139], v[104:105], -v[177:178]
	v_fma_f64 v[140:141], v[140:141], v[104:105], v[179:180]
	;; [unrolled: 2-line block ×6, first 2 shown]
	v_add_f64 v[173:174], v[134:135], v[154:155]
	v_add_f64 v[175:176], v[136:137], v[171:172]
	v_add_f64 v[134:135], v[134:135], -v[154:155]
	v_add_f64 v[136:137], v[136:137], -v[171:172]
	v_add_f64 v[154:155], v[138:139], v[150:151]
	v_add_f64 v[171:172], v[140:141], v[152:153]
	v_add_f64 v[138:139], v[138:139], -v[150:151]
	v_add_f64 v[140:141], v[140:141], -v[152:153]
	;; [unrolled: 4-line block ×4, first 2 shown]
	v_add_f64 v[173:174], v[173:174], -v[150:151]
	v_add_f64 v[175:176], v[175:176], -v[152:153]
	;; [unrolled: 1-line block ×4, first 2 shown]
	v_add_f64 v[181:182], v[142:143], v[138:139]
	v_add_f64 v[183:184], v[144:145], v[140:141]
	v_add_f64 v[185:186], v[142:143], -v[138:139]
	v_add_f64 v[187:188], v[144:145], -v[140:141]
	v_add_f64 v[146:147], v[150:151], v[146:147]
	v_add_f64 v[148:149], v[152:153], v[148:149]
	v_add_f64 v[138:139], v[138:139], -v[134:135]
	v_add_f64 v[140:141], v[140:141], -v[136:137]
	;; [unrolled: 1-line block ×4, first 2 shown]
	v_add_f64 v[150:151], v[181:182], v[134:135]
	v_add_f64 v[152:153], v[183:184], v[136:137]
	v_mul_f64 v[173:174], v[173:174], s[12:13]
	v_mul_f64 v[175:176], v[175:176], s[12:13]
	;; [unrolled: 1-line block ×6, first 2 shown]
	v_add_f64 v[134:135], v[128:129], v[146:147]
	v_add_f64 v[136:137], v[130:131], v[148:149]
	v_mul_f64 v[189:190], v[138:139], s[14:15]
	v_mul_f64 v[191:192], v[140:141], s[14:15]
	v_fma_f64 v[128:129], v[154:155], s[4:5], v[173:174]
	v_fma_f64 v[130:131], v[171:172], s[4:5], v[175:176]
	v_fma_f64 v[154:155], v[177:178], s[22:23], -v[181:182]
	v_fma_f64 v[171:172], v[179:180], s[22:23], -v[183:184]
	;; [unrolled: 1-line block ×4, first 2 shown]
	v_fma_f64 v[177:178], v[142:143], s[26:27], v[185:186]
	v_fma_f64 v[179:180], v[144:145], s[26:27], v[187:188]
	;; [unrolled: 1-line block ×4, first 2 shown]
	v_fma_f64 v[138:139], v[138:139], s[14:15], -v[185:186]
	v_fma_f64 v[142:143], v[142:143], s[28:29], -v[189:190]
	;; [unrolled: 1-line block ×4, first 2 shown]
	v_fma_f64 v[177:178], v[150:151], s[30:31], v[177:178]
	v_fma_f64 v[179:180], v[152:153], s[30:31], v[179:180]
	v_add_f64 v[128:129], v[128:129], v[146:147]
	v_add_f64 v[130:131], v[130:131], v[148:149]
	v_fma_f64 v[181:182], v[150:151], s[30:31], v[138:139]
	v_fma_f64 v[185:186], v[150:151], s[30:31], v[142:143]
	;; [unrolled: 1-line block ×3, first 2 shown]
	v_add_f64 v[150:151], v[154:155], v[146:147]
	v_add_f64 v[154:155], v[173:174], v[146:147]
	;; [unrolled: 1-line block ×3, first 2 shown]
	v_fma_f64 v[183:184], v[152:153], s[30:31], v[140:141]
	v_add_f64 v[152:153], v[171:172], v[148:149]
	v_add_f64 v[138:139], v[179:180], v[128:129]
	v_add_f64 v[140:141], v[130:131], -v[177:178]
	v_add_co_u32_e32 v175, vcc, s17, v158
	v_add_f64 v[142:143], v[187:188], v[154:155]
	v_add_f64 v[144:145], v[173:174], -v[185:186]
	v_add_f64 v[146:147], v[150:151], -v[183:184]
	v_add_f64 v[148:149], v[181:182], v[152:153]
	v_add_f64 v[150:151], v[183:184], v[150:151]
	v_add_f64 v[152:153], v[152:153], -v[181:182]
	v_addc_co_u32_e32 v176, vcc, 0, v197, vcc
	v_add_f64 v[171:172], v[154:155], -v[187:188]
	v_add_f64 v[173:174], v[185:186], v[173:174]
	v_add_f64 v[128:129], v[128:129], -v[179:180]
	v_add_f64 v[130:131], v[177:178], v[130:131]
	v_add_co_u32_e32 v154, vcc, s33, v158
	v_addc_co_u32_e32 v155, vcc, 0, v197, vcc
	ds_write_b128 v157, v[134:137]
	ds_write_b128 v157, v[138:141] offset:3024
	ds_write_b128 v157, v[142:145] offset:6048
	ds_write_b128 v157, v[146:149] offset:9072
	ds_write_b128 v157, v[150:153] offset:12096
	ds_write_b128 v157, v[171:174] offset:15120
	ds_write_b128 v157, v[128:131] offset:18144
	v_add_co_u32_e32 v138, vcc, s34, v158
	v_addc_co_u32_e32 v139, vcc, 0, v197, vcc
	s_waitcnt lgkmcnt(0)
	s_barrier
	global_load_dwordx4 v[134:137], v[154:155], off offset:3648
	s_nop 0
	global_load_dwordx4 v[138:141], v[138:139], off offset:2512
	s_nop 0
	global_load_dwordx4 v[142:145], v[175:176], off offset:688
	global_load_dwordx4 v[146:149], v[132:133], off offset:3024
	v_add_co_u32_e32 v150, vcc, s2, v158
	v_addc_co_u32_e32 v151, vcc, 0, v197, vcc
	s_mov_b32 s2, 0x9000
	v_add_co_u32_e32 v154, vcc, s2, v158
	global_load_dwordx4 v[150:153], v[150:151], off offset:2576
	v_addc_co_u32_e32 v155, vcc, 0, v197, vcc
	global_load_dwordx4 v[171:174], v[154:155], off offset:1440
	ds_read_b128 v[175:178], v157
	ds_read_b128 v[179:182], v157 offset:3024
	ds_read_b128 v[183:186], v157 offset:7056
	;; [unrolled: 1-line block ×5, first 2 shown]
	s_waitcnt vmcnt(5) lgkmcnt(3)
	v_mul_f64 v[199:200], v[185:186], v[136:137]
	v_mul_f64 v[136:137], v[183:184], v[136:137]
	s_waitcnt vmcnt(3)
	v_mul_f64 v[154:155], v[177:178], v[144:145]
	v_mul_f64 v[144:145], v[175:176], v[144:145]
	s_waitcnt lgkmcnt(1)
	v_mul_f64 v[201:202], v[193:194], v[140:141]
	v_mul_f64 v[203:204], v[191:192], v[140:141]
	s_waitcnt vmcnt(2)
	v_mul_f64 v[205:206], v[181:182], v[148:149]
	v_mul_f64 v[148:149], v[179:180], v[148:149]
	v_fma_f64 v[140:141], v[175:176], v[142:143], -v[154:155]
	s_waitcnt vmcnt(1)
	v_mul_f64 v[207:208], v[189:190], v[152:153]
	v_mul_f64 v[209:210], v[187:188], v[152:153]
	v_fma_f64 v[142:143], v[177:178], v[142:143], v[144:145]
	s_waitcnt vmcnt(0) lgkmcnt(0)
	v_mul_f64 v[211:212], v[197:198], v[173:174]
	v_mul_f64 v[213:214], v[195:196], v[173:174]
	v_fma_f64 v[152:153], v[183:184], v[134:135], -v[199:200]
	v_fma_f64 v[154:155], v[185:186], v[134:135], v[136:137]
	v_fma_f64 v[134:135], v[191:192], v[138:139], -v[201:202]
	v_fma_f64 v[136:137], v[193:194], v[138:139], v[203:204]
	;; [unrolled: 2-line block ×5, first 2 shown]
	ds_write_b128 v157, v[140:143]
	ds_write_b128 v157, v[152:155] offset:7056
	ds_write_b128 v157, v[134:137] offset:14112
	;; [unrolled: 1-line block ×5, first 2 shown]
	s_and_saveexec_b64 s[2:3], s[0:1]
	s_cbranch_execz .LBB0_17
; %bb.16:
	v_add_co_u32_e32 v134, vcc, 0x1000, v132
	v_addc_co_u32_e32 v135, vcc, 0, v133, vcc
	s_movk_i32 s4, 0x3000
	v_add_co_u32_e32 v138, vcc, s4, v132
	v_addc_co_u32_e32 v139, vcc, 0, v133, vcc
	s_movk_i32 s4, 0x4000
	v_add_co_u32_e32 v132, vcc, s4, v132
	global_load_dwordx4 v[134:137], v[134:135], off offset:1952
	s_nop 0
	global_load_dwordx4 v[138:141], v[138:139], off offset:816
	v_addc_co_u32_e32 v133, vcc, 0, v133, vcc
	global_load_dwordx4 v[142:145], v[132:133], off offset:3776
	ds_read_b128 v[146:149], v157 offset:6048
	ds_read_b128 v[150:153], v157 offset:13104
	;; [unrolled: 1-line block ×3, first 2 shown]
	s_waitcnt vmcnt(2) lgkmcnt(2)
	v_mul_f64 v[132:133], v[148:149], v[136:137]
	v_mul_f64 v[136:137], v[146:147], v[136:137]
	s_waitcnt vmcnt(1) lgkmcnt(1)
	v_mul_f64 v[154:155], v[152:153], v[140:141]
	v_mul_f64 v[140:141], v[150:151], v[140:141]
	;; [unrolled: 3-line block ×3, first 2 shown]
	v_fma_f64 v[132:133], v[146:147], v[134:135], -v[132:133]
	v_fma_f64 v[134:135], v[148:149], v[134:135], v[136:137]
	v_fma_f64 v[136:137], v[150:151], v[138:139], -v[154:155]
	v_fma_f64 v[138:139], v[152:153], v[138:139], v[140:141]
	;; [unrolled: 2-line block ×3, first 2 shown]
	ds_write_b128 v157, v[132:135] offset:6048
	ds_write_b128 v157, v[136:139] offset:13104
	;; [unrolled: 1-line block ×3, first 2 shown]
.LBB0_17:
	s_or_b64 exec, exec, s[2:3]
	s_waitcnt lgkmcnt(0)
	s_barrier
	ds_read_b128 v[148:151], v157
	ds_read_b128 v[136:139], v157 offset:3024
	ds_read_b128 v[152:155], v157 offset:7056
	ds_read_b128 v[140:143], v157 offset:10080
	ds_read_b128 v[144:147], v157 offset:14112
	ds_read_b128 v[132:135], v157 offset:17136
	s_and_saveexec_b64 s[2:3], s[0:1]
	s_cbranch_execz .LBB0_19
; %bb.18:
	ds_read_b128 v[128:131], v157 offset:6048
	ds_read_b128 v[120:123], v157 offset:13104
	;; [unrolled: 1-line block ×3, first 2 shown]
.LBB0_19:
	s_or_b64 exec, exec, s[2:3]
	s_waitcnt lgkmcnt(1)
	v_add_f64 v[171:172], v[152:153], v[144:145]
	v_add_f64 v[173:174], v[148:149], v[152:153]
	;; [unrolled: 1-line block ×3, first 2 shown]
	s_waitcnt lgkmcnt(0)
	v_add_f64 v[179:180], v[140:141], v[132:133]
	v_add_f64 v[175:176], v[154:155], -v[146:147]
	v_add_f64 v[154:155], v[150:151], v[154:155]
	v_add_f64 v[181:182], v[152:153], -v[144:145]
	s_mov_b32 s2, 0xe8584caa
	v_fma_f64 v[171:172], v[171:172], -0.5, v[148:149]
	v_add_f64 v[144:145], v[173:174], v[144:145]
	v_fma_f64 v[177:178], v[177:178], -0.5, v[150:151]
	v_fma_f64 v[173:174], v[179:180], -0.5, v[136:137]
	v_add_f64 v[179:180], v[142:143], -v[134:135]
	s_mov_b32 s3, 0xbfebb67a
	s_mov_b32 s5, 0x3febb67a
	;; [unrolled: 1-line block ×3, first 2 shown]
	v_add_f64 v[183:184], v[136:137], v[140:141]
	v_fma_f64 v[148:149], v[175:176], s[2:3], v[171:172]
	v_fma_f64 v[152:153], v[175:176], s[4:5], v[171:172]
	v_add_f64 v[146:147], v[154:155], v[146:147]
	v_fma_f64 v[150:151], v[181:182], s[4:5], v[177:178]
	v_add_f64 v[185:186], v[142:143], v[134:135]
	;; [unrolled: 2-line block ×3, first 2 shown]
	v_fma_f64 v[171:172], v[179:180], s[2:3], v[173:174]
	v_fma_f64 v[175:176], v[179:180], s[4:5], v[173:174]
	v_add_f64 v[173:174], v[122:123], v[126:127]
	v_add_f64 v[136:137], v[183:184], v[132:133]
	;; [unrolled: 1-line block ×3, first 2 shown]
	v_fma_f64 v[179:180], v[185:186], -0.5, v[138:139]
	v_add_f64 v[132:133], v[140:141], -v[132:133]
	v_add_f64 v[140:141], v[128:129], v[120:121]
	v_fma_f64 v[128:129], v[177:178], -0.5, v[128:129]
	v_add_f64 v[181:182], v[122:123], -v[126:127]
	v_add_f64 v[122:123], v[130:131], v[122:123]
	;; [unrolled: 3-line block ×3, first 2 shown]
	v_fma_f64 v[173:174], v[132:133], s[4:5], v[179:180]
	v_fma_f64 v[177:178], v[132:133], s[2:3], v[179:180]
	v_add_f64 v[120:121], v[140:141], v[124:125]
	v_fma_f64 v[132:133], v[181:182], s[2:3], v[128:129]
	v_fma_f64 v[128:129], v[181:182], s[4:5], v[128:129]
	v_add_f64 v[122:123], v[122:123], v[126:127]
	v_fma_f64 v[134:135], v[183:184], s[4:5], v[130:131]
	v_fma_f64 v[130:131], v[183:184], s[2:3], v[130:131]
	s_barrier
	ds_write_b128 v161, v[144:147]
	ds_write_b128 v161, v[148:151] offset:16
	ds_write_b128 v161, v[152:155] offset:32
	ds_write_b128 v162, v[136:139]
	ds_write_b128 v162, v[171:174] offset:16
	ds_write_b128 v162, v[175:178] offset:32
	s_and_saveexec_b64 s[2:3], s[0:1]
	s_cbranch_execz .LBB0_21
; %bb.20:
	v_lshlrev_b32_e32 v124, 4, v163
	ds_write_b128 v124, v[120:123]
	ds_write_b128 v124, v[132:135] offset:16
	ds_write_b128 v124, v[128:131] offset:32
.LBB0_21:
	s_or_b64 exec, exec, s[2:3]
	s_waitcnt lgkmcnt(0)
	s_barrier
	ds_read_b128 v[136:139], v157
	ds_read_b128 v[124:127], v157 offset:3024
	ds_read_b128 v[148:151], v157 offset:7056
	;; [unrolled: 1-line block ×5, first 2 shown]
	s_and_saveexec_b64 s[2:3], s[0:1]
	s_cbranch_execz .LBB0_23
; %bb.22:
	ds_read_b128 v[120:123], v157 offset:6048
	ds_read_b128 v[132:135], v157 offset:13104
	;; [unrolled: 1-line block ×3, first 2 shown]
.LBB0_23:
	s_or_b64 exec, exec, s[2:3]
	s_waitcnt lgkmcnt(3)
	v_mul_f64 v[161:162], v[30:31], v[150:151]
	s_waitcnt lgkmcnt(1)
	v_mul_f64 v[171:172], v[26:27], v[154:155]
	v_mul_f64 v[30:31], v[30:31], v[148:149]
	;; [unrolled: 1-line block ×5, first 2 shown]
	s_waitcnt lgkmcnt(0)
	v_mul_f64 v[175:176], v[34:35], v[146:147]
	v_mul_f64 v[34:35], v[34:35], v[144:145]
	v_fma_f64 v[148:149], v[28:29], v[148:149], v[161:162]
	v_fma_f64 v[152:153], v[24:25], v[152:153], v[171:172]
	v_mul_f64 v[161:162], v[46:47], v[134:135]
	v_mul_f64 v[46:47], v[46:47], v[132:133]
	;; [unrolled: 1-line block ×4, first 2 shown]
	v_fma_f64 v[28:29], v[28:29], v[150:151], -v[30:31]
	v_fma_f64 v[24:25], v[24:25], v[154:155], -v[26:27]
	v_fma_f64 v[30:31], v[36:37], v[140:141], v[173:174]
	v_add_f64 v[26:27], v[148:149], v[152:153]
	v_fma_f64 v[140:141], v[36:37], v[142:143], -v[38:39]
	v_fma_f64 v[142:143], v[32:33], v[144:145], v[175:176]
	v_fma_f64 v[32:33], v[32:33], v[146:147], -v[34:35]
	v_add_f64 v[34:35], v[136:137], v[148:149]
	v_fma_f64 v[144:145], v[44:45], v[132:133], v[161:162]
	v_fma_f64 v[134:135], v[44:45], v[134:135], -v[46:47]
	v_add_f64 v[38:39], v[28:29], -v[24:25]
	v_fma_f64 v[26:27], v[26:27], -0.5, v[136:137]
	v_fma_f64 v[136:137], v[40:41], v[128:129], v[171:172]
	v_add_f64 v[44:45], v[28:29], v[24:25]
	v_fma_f64 v[146:147], v[40:41], v[130:131], -v[42:43]
	v_add_f64 v[36:37], v[34:35], v[152:153]
	v_add_f64 v[34:35], v[30:31], v[142:143]
	;; [unrolled: 1-line block ×3, first 2 shown]
	s_mov_b32 s2, 0xe8584caa
	s_mov_b32 s3, 0xbfebb67a
	;; [unrolled: 1-line block ×3, first 2 shown]
	v_fma_f64 v[40:41], v[38:39], s[2:3], v[26:27]
	v_fma_f64 v[46:47], v[44:45], -0.5, v[138:139]
	v_add_f64 v[128:129], v[148:149], -v[152:153]
	v_add_f64 v[130:131], v[124:125], v[30:31]
	v_fma_f64 v[34:35], v[34:35], -0.5, v[124:125]
	v_add_f64 v[132:133], v[140:141], -v[32:33]
	v_fma_f64 v[44:45], v[38:39], s[4:5], v[26:27]
	v_add_f64 v[38:39], v[28:29], v[24:25]
	v_add_f64 v[24:25], v[140:141], v[32:33]
	;; [unrolled: 1-line block ×4, first 2 shown]
	v_fma_f64 v[42:43], v[128:129], s[4:5], v[46:47]
	v_fma_f64 v[46:47], v[128:129], s[2:3], v[46:47]
	v_add_f64 v[124:125], v[130:131], v[142:143]
	v_fma_f64 v[128:129], v[132:133], s[2:3], v[34:35]
	v_fma_f64 v[132:133], v[132:133], s[4:5], v[34:35]
	v_add_f64 v[34:35], v[126:127], v[140:141]
	v_fma_f64 v[24:25], v[24:25], -0.5, v[126:127]
	v_add_f64 v[30:31], v[30:31], -v[142:143]
	v_add_f64 v[138:139], v[120:121], v[144:145]
	v_fma_f64 v[26:27], v[26:27], -0.5, v[120:121]
	v_add_f64 v[120:121], v[134:135], -v[146:147]
	;; [unrolled: 3-line block ×3, first 2 shown]
	v_add_f64 v[126:127], v[34:35], v[32:33]
	v_fma_f64 v[130:131], v[30:31], s[4:5], v[24:25]
	v_fma_f64 v[134:135], v[30:31], s[2:3], v[24:25]
	v_add_f64 v[24:25], v[138:139], v[136:137]
	v_fma_f64 v[28:29], v[120:121], s[2:3], v[26:27]
	v_fma_f64 v[32:33], v[120:121], s[4:5], v[26:27]
	;; [unrolled: 3-line block ×3, first 2 shown]
	s_barrier
	ds_write_b128 v165, v[36:39]
	ds_write_b128 v165, v[40:43] offset:48
	ds_write_b128 v165, v[44:47] offset:96
	ds_write_b128 v164, v[124:127]
	ds_write_b128 v164, v[128:131] offset:48
	ds_write_b128 v164, v[132:135] offset:96
	s_and_saveexec_b64 s[2:3], s[0:1]
	s_cbranch_execz .LBB0_25
; %bb.24:
	v_lshlrev_b32_e32 v36, 4, v166
	ds_write_b128 v36, v[24:27]
	ds_write_b128 v36, v[28:31] offset:48
	ds_write_b128 v36, v[32:35] offset:96
.LBB0_25:
	s_or_b64 exec, exec, s[2:3]
	s_waitcnt lgkmcnt(0)
	s_barrier
	ds_read_b128 v[40:43], v157
	ds_read_b128 v[36:39], v157 offset:3024
	ds_read_b128 v[124:127], v157 offset:7056
	;; [unrolled: 1-line block ×5, first 2 shown]
	s_and_saveexec_b64 s[2:3], s[0:1]
	s_cbranch_execz .LBB0_27
; %bb.26:
	ds_read_b128 v[24:27], v157 offset:6048
	ds_read_b128 v[28:31], v157 offset:13104
	;; [unrolled: 1-line block ×3, first 2 shown]
.LBB0_27:
	s_or_b64 exec, exec, s[2:3]
	s_waitcnt lgkmcnt(3)
	v_mul_f64 v[132:133], v[62:63], v[126:127]
	s_waitcnt lgkmcnt(1)
	v_mul_f64 v[134:135], v[58:59], v[130:131]
	v_mul_f64 v[62:63], v[62:63], v[124:125]
	;; [unrolled: 1-line block ×5, first 2 shown]
	s_mov_b32 s2, 0xe8584caa
	s_mov_b32 s3, 0xbfebb67a
	v_fma_f64 v[124:125], v[60:61], v[124:125], v[132:133]
	v_fma_f64 v[128:129], v[56:57], v[128:129], v[134:135]
	s_waitcnt lgkmcnt(0)
	v_mul_f64 v[132:133], v[66:67], v[122:123]
	v_mul_f64 v[66:67], v[66:67], v[120:121]
	v_fma_f64 v[60:61], v[60:61], v[126:127], -v[62:63]
	v_fma_f64 v[58:59], v[56:57], v[130:131], -v[58:59]
	v_fma_f64 v[62:63], v[68:69], v[44:45], v[136:137]
	v_fma_f64 v[46:47], v[68:69], v[46:47], -v[70:71]
	v_add_f64 v[44:45], v[40:41], v[124:125]
	v_add_f64 v[56:57], v[124:125], v[128:129]
	v_fma_f64 v[68:69], v[64:65], v[120:121], v[132:133]
	v_fma_f64 v[66:67], v[64:65], v[122:123], -v[66:67]
	v_add_f64 v[122:123], v[124:125], -v[128:129]
	v_add_f64 v[70:71], v[60:61], v[58:59]
	v_add_f64 v[64:65], v[60:61], -v[58:59]
	v_add_f64 v[60:61], v[42:43], v[60:61]
	s_mov_b32 s4, s2
	v_fma_f64 v[56:57], v[56:57], -0.5, v[40:41]
	v_add_f64 v[120:121], v[62:63], v[68:69]
	v_add_f64 v[124:125], v[46:47], v[66:67]
	;; [unrolled: 1-line block ×3, first 2 shown]
	v_fma_f64 v[70:71], v[70:71], -0.5, v[42:43]
	v_add_f64 v[128:129], v[38:39], v[46:47]
	v_add_f64 v[126:127], v[46:47], -v[66:67]
	v_add_f64 v[130:131], v[62:63], -v[68:69]
	v_fma_f64 v[44:45], v[64:65], s[2:3], v[56:57]
	v_fma_f64 v[56:57], v[64:65], s[4:5], v[56:57]
	v_add_f64 v[64:65], v[36:37], v[62:63]
	v_fma_f64 v[120:121], v[120:121], -0.5, v[36:37]
	v_fma_f64 v[124:125], v[124:125], -0.5, v[38:39]
	v_add_f64 v[42:43], v[60:61], v[58:59]
	v_fma_f64 v[46:47], v[122:123], s[4:5], v[70:71]
	v_fma_f64 v[58:59], v[122:123], s[2:3], v[70:71]
	v_add_f64 v[38:39], v[128:129], v[66:67]
	v_add_f64 v[36:37], v[64:65], v[68:69]
	v_fma_f64 v[60:61], v[126:127], s[2:3], v[120:121]
	v_fma_f64 v[62:63], v[130:131], s[4:5], v[124:125]
	;; [unrolled: 1-line block ×4, first 2 shown]
	s_barrier
	ds_write_b128 v168, v[40:43]
	ds_write_b128 v168, v[44:47] offset:144
	ds_write_b128 v168, v[56:59] offset:288
	ds_write_b128 v167, v[36:39]
	ds_write_b128 v167, v[60:63] offset:144
	ds_write_b128 v167, v[64:67] offset:288
	s_and_saveexec_b64 s[12:13], s[0:1]
	s_cbranch_execz .LBB0_29
; %bb.28:
	v_mul_f64 v[36:37], v[54:55], v[28:29]
	v_mul_f64 v[38:39], v[50:51], v[32:33]
	;; [unrolled: 1-line block ×4, first 2 shown]
	v_fma_f64 v[30:31], v[52:53], v[30:31], -v[36:37]
	v_fma_f64 v[34:35], v[48:49], v[34:35], -v[38:39]
	v_fma_f64 v[28:29], v[52:53], v[28:29], v[40:41]
	v_fma_f64 v[32:33], v[48:49], v[32:33], v[42:43]
	v_add_f64 v[42:43], v[26:27], v[30:31]
	v_add_f64 v[36:37], v[30:31], v[34:35]
	v_add_f64 v[44:45], v[30:31], -v[34:35]
	v_add_f64 v[38:39], v[28:29], v[32:33]
	v_add_f64 v[40:41], v[28:29], -v[32:33]
	v_add_f64 v[28:29], v[24:25], v[28:29]
	v_fma_f64 v[36:37], v[36:37], -0.5, v[26:27]
	v_add_f64 v[26:27], v[42:43], v[34:35]
	v_fma_f64 v[38:39], v[38:39], -0.5, v[24:25]
	v_add_f64 v[24:25], v[28:29], v[32:33]
	v_fma_f64 v[34:35], v[40:41], s[4:5], v[36:37]
	v_fma_f64 v[30:31], v[40:41], s[2:3], v[36:37]
	;; [unrolled: 1-line block ×4, first 2 shown]
	v_lshlrev_b32_e32 v36, 4, v169
	ds_write_b128 v36, v[24:27]
	ds_write_b128 v36, v[32:35] offset:144
	ds_write_b128 v36, v[28:31] offset:288
.LBB0_29:
	s_or_b64 exec, exec, s[12:13]
	s_waitcnt lgkmcnt(0)
	s_barrier
	ds_read_b128 v[24:27], v157 offset:3024
	ds_read_b128 v[28:31], v157 offset:6048
	;; [unrolled: 1-line block ×3, first 2 shown]
	ds_read_b128 v[36:39], v157
	ds_read_b128 v[40:43], v157 offset:12096
	ds_read_b128 v[44:47], v157 offset:15120
	;; [unrolled: 1-line block ×3, first 2 shown]
	s_mov_b32 s4, 0x37e14327
	s_waitcnt lgkmcnt(6)
	v_mul_f64 v[52:53], v[86:87], v[26:27]
	v_mul_f64 v[54:55], v[86:87], v[24:25]
	s_waitcnt lgkmcnt(5)
	v_mul_f64 v[56:57], v[82:83], v[30:31]
	v_mul_f64 v[58:59], v[82:83], v[28:29]
	s_waitcnt lgkmcnt(1)
	v_mul_f64 v[60:61], v[94:95], v[46:47]
	v_mul_f64 v[62:63], v[94:95], v[44:45]
	v_mul_f64 v[64:65], v[74:75], v[42:43]
	v_mul_f64 v[66:67], v[74:75], v[40:41]
	v_fma_f64 v[24:25], v[84:85], v[24:25], v[52:53]
	v_fma_f64 v[26:27], v[84:85], v[26:27], -v[54:55]
	s_waitcnt lgkmcnt(0)
	v_mul_f64 v[52:53], v[90:91], v[50:51]
	v_mul_f64 v[54:55], v[90:91], v[48:49]
	v_fma_f64 v[28:29], v[80:81], v[28:29], v[56:57]
	v_fma_f64 v[30:31], v[80:81], v[30:31], -v[58:59]
	v_mul_f64 v[56:57], v[78:79], v[34:35]
	v_mul_f64 v[58:59], v[78:79], v[32:33]
	v_fma_f64 v[44:45], v[92:93], v[44:45], v[60:61]
	v_fma_f64 v[46:47], v[92:93], v[46:47], -v[62:63]
	v_fma_f64 v[48:49], v[88:89], v[48:49], v[52:53]
	v_fma_f64 v[50:51], v[88:89], v[50:51], -v[54:55]
	;; [unrolled: 2-line block ×4, first 2 shown]
	s_mov_b32 s2, 0x36b3c0b5
	s_mov_b32 s14, 0xe976ee23
	v_add_f64 v[52:53], v[24:25], v[48:49]
	v_add_f64 v[54:55], v[26:27], v[50:51]
	v_add_f64 v[24:25], v[24:25], -v[48:49]
	v_add_f64 v[26:27], v[26:27], -v[50:51]
	v_add_f64 v[48:49], v[28:29], v[44:45]
	v_add_f64 v[50:51], v[30:31], v[46:47]
	v_add_f64 v[28:29], v[28:29], -v[44:45]
	v_add_f64 v[30:31], v[30:31], -v[46:47]
	;; [unrolled: 4-line block ×4, first 2 shown]
	v_add_f64 v[52:53], v[52:53], -v[44:45]
	v_add_f64 v[54:55], v[54:55], -v[46:47]
	;; [unrolled: 1-line block ×4, first 2 shown]
	v_add_f64 v[60:61], v[32:33], v[28:29]
	v_add_f64 v[62:63], v[34:35], v[30:31]
	v_add_f64 v[64:65], v[32:33], -v[28:29]
	v_add_f64 v[66:67], v[34:35], -v[30:31]
	v_add_f64 v[40:41], v[44:45], v[40:41]
	v_add_f64 v[42:43], v[46:47], v[42:43]
	v_add_f64 v[28:29], v[28:29], -v[24:25]
	v_add_f64 v[30:31], v[30:31], -v[26:27]
	s_mov_b32 s5, 0x3fe948f6
	s_mov_b32 s3, 0x3fac98ee
	s_mov_b32 s15, 0x3fe11646
	s_mov_b32 s12, 0x429ad128
	v_add_f64 v[32:33], v[24:25], -v[32:33]
	v_add_f64 v[34:35], v[26:27], -v[34:35]
	v_add_f64 v[44:45], v[60:61], v[24:25]
	v_add_f64 v[46:47], v[62:63], v[26:27]
	;; [unrolled: 1-line block ×4, first 2 shown]
	v_mul_f64 v[36:37], v[52:53], s[4:5]
	v_mul_f64 v[38:39], v[54:55], s[4:5]
	;; [unrolled: 1-line block ×6, first 2 shown]
	s_mov_b32 s13, 0xbfebfeb5
	v_mul_f64 v[64:65], v[28:29], s[12:13]
	v_mul_f64 v[66:67], v[30:31], s[12:13]
	s_mov_b32 s16, 0xaaaaaaaa
	s_mov_b32 s18, 0x5476071b
	;; [unrolled: 1-line block ×8, first 2 shown]
	v_fma_f64 v[40:41], v[40:41], s[16:17], v[24:25]
	v_fma_f64 v[42:43], v[42:43], s[16:17], v[26:27]
	;; [unrolled: 1-line block ×4, first 2 shown]
	v_fma_f64 v[52:53], v[56:57], s[18:19], -v[52:53]
	v_fma_f64 v[54:55], v[58:59], s[18:19], -v[54:55]
	;; [unrolled: 1-line block ×4, first 2 shown]
	v_fma_f64 v[56:57], v[32:33], s[22:23], v[60:61]
	v_fma_f64 v[58:59], v[34:35], s[22:23], v[62:63]
	s_mov_b32 s27, 0x3fd5d0dc
	s_mov_b32 s26, s22
	v_fma_f64 v[32:33], v[32:33], s[26:27], -v[64:65]
	v_fma_f64 v[34:35], v[34:35], s[26:27], -v[66:67]
	;; [unrolled: 1-line block ×4, first 2 shown]
	s_mov_b32 s24, 0x37c3f68c
	s_mov_b32 s25, 0xbfdc38aa
	v_add_f64 v[48:49], v[48:49], v[40:41]
	v_add_f64 v[50:51], v[50:51], v[42:43]
	v_fma_f64 v[58:59], v[46:47], s[24:25], v[58:59]
	v_fma_f64 v[56:57], v[44:45], s[24:25], v[56:57]
	v_add_f64 v[60:61], v[36:37], v[40:41]
	v_add_f64 v[62:63], v[38:39], v[42:43]
	v_fma_f64 v[64:65], v[46:47], s[24:25], v[34:35]
	v_fma_f64 v[66:67], v[44:45], s[24:25], v[32:33]
	;; [unrolled: 4-line block ×3, first 2 shown]
	v_add_f64 v[28:29], v[58:59], v[48:49]
	v_add_f64 v[30:31], v[50:51], -v[56:57]
	v_add_f64 v[32:33], v[64:65], v[60:61]
	v_add_f64 v[34:35], v[62:63], -v[66:67]
	v_add_f64 v[44:45], v[60:61], -v[64:65]
	v_add_f64 v[46:47], v[66:67], v[62:63]
	v_add_f64 v[36:37], v[52:53], -v[40:41]
	v_add_f64 v[38:39], v[42:43], v[54:55]
	v_add_f64 v[40:41], v[40:41], v[52:53]
	v_add_f64 v[42:43], v[54:55], -v[42:43]
	v_add_f64 v[48:49], v[48:49], -v[58:59]
	v_add_f64 v[50:51], v[56:57], v[50:51]
	s_barrier
	ds_write_b128 v170, v[24:27]
	ds_write_b128 v170, v[28:31] offset:432
	ds_write_b128 v170, v[32:35] offset:864
	;; [unrolled: 1-line block ×6, first 2 shown]
	s_waitcnt lgkmcnt(0)
	s_barrier
	ds_read_b128 v[24:27], v157 offset:3024
	ds_read_b128 v[28:31], v157 offset:6048
	;; [unrolled: 1-line block ×3, first 2 shown]
	ds_read_b128 v[36:39], v157
	ds_read_b128 v[40:43], v157 offset:12096
	ds_read_b128 v[44:47], v157 offset:15120
	;; [unrolled: 1-line block ×3, first 2 shown]
	s_waitcnt lgkmcnt(6)
	v_mul_f64 v[52:53], v[110:111], v[26:27]
	v_mul_f64 v[54:55], v[110:111], v[24:25]
	s_waitcnt lgkmcnt(5)
	v_mul_f64 v[56:57], v[106:107], v[30:31]
	v_mul_f64 v[58:59], v[106:107], v[28:29]
	;; [unrolled: 3-line block ×3, first 2 shown]
	v_mul_f64 v[64:65], v[98:99], v[42:43]
	v_mul_f64 v[66:67], v[98:99], v[40:41]
	v_fma_f64 v[24:25], v[108:109], v[24:25], v[52:53]
	v_fma_f64 v[26:27], v[108:109], v[26:27], -v[54:55]
	s_waitcnt lgkmcnt(0)
	v_mul_f64 v[52:53], v[114:115], v[50:51]
	v_mul_f64 v[54:55], v[114:115], v[48:49]
	v_fma_f64 v[28:29], v[104:105], v[28:29], v[56:57]
	v_fma_f64 v[30:31], v[104:105], v[30:31], -v[58:59]
	v_mul_f64 v[56:57], v[102:103], v[34:35]
	v_mul_f64 v[58:59], v[102:103], v[32:33]
	v_fma_f64 v[44:45], v[116:117], v[44:45], v[60:61]
	v_fma_f64 v[46:47], v[116:117], v[46:47], -v[62:63]
	v_fma_f64 v[48:49], v[112:113], v[48:49], v[52:53]
	v_fma_f64 v[50:51], v[112:113], v[50:51], -v[54:55]
	v_fma_f64 v[40:41], v[96:97], v[40:41], v[64:65]
	v_fma_f64 v[42:43], v[96:97], v[42:43], -v[66:67]
	v_fma_f64 v[32:33], v[100:101], v[32:33], v[56:57]
	v_fma_f64 v[34:35], v[100:101], v[34:35], -v[58:59]
	v_add_f64 v[52:53], v[24:25], v[48:49]
	v_add_f64 v[54:55], v[26:27], v[50:51]
	v_add_f64 v[24:25], v[24:25], -v[48:49]
	v_add_f64 v[26:27], v[26:27], -v[50:51]
	v_add_f64 v[48:49], v[28:29], v[44:45]
	v_add_f64 v[50:51], v[30:31], v[46:47]
	v_add_f64 v[28:29], v[28:29], -v[44:45]
	v_add_f64 v[30:31], v[30:31], -v[46:47]
	;; [unrolled: 4-line block ×4, first 2 shown]
	v_add_f64 v[52:53], v[52:53], -v[44:45]
	v_add_f64 v[54:55], v[54:55], -v[46:47]
	;; [unrolled: 1-line block ×4, first 2 shown]
	v_add_f64 v[60:61], v[32:33], v[28:29]
	v_add_f64 v[62:63], v[34:35], v[30:31]
	v_add_f64 v[64:65], v[32:33], -v[28:29]
	v_add_f64 v[66:67], v[34:35], -v[30:31]
	v_add_f64 v[40:41], v[44:45], v[40:41]
	v_add_f64 v[42:43], v[46:47], v[42:43]
	v_add_f64 v[28:29], v[28:29], -v[24:25]
	v_add_f64 v[30:31], v[30:31], -v[26:27]
	;; [unrolled: 1-line block ×4, first 2 shown]
	v_add_f64 v[44:45], v[60:61], v[24:25]
	v_add_f64 v[46:47], v[62:63], v[26:27]
	;; [unrolled: 1-line block ×4, first 2 shown]
	v_mul_f64 v[36:37], v[52:53], s[4:5]
	v_mul_f64 v[38:39], v[54:55], s[4:5]
	;; [unrolled: 1-line block ×8, first 2 shown]
	v_fma_f64 v[40:41], v[40:41], s[16:17], v[24:25]
	v_fma_f64 v[42:43], v[42:43], s[16:17], v[26:27]
	;; [unrolled: 1-line block ×4, first 2 shown]
	v_fma_f64 v[52:53], v[56:57], s[18:19], -v[52:53]
	v_fma_f64 v[54:55], v[58:59], s[18:19], -v[54:55]
	;; [unrolled: 1-line block ×4, first 2 shown]
	v_fma_f64 v[56:57], v[32:33], s[22:23], v[60:61]
	v_fma_f64 v[58:59], v[34:35], s[22:23], v[62:63]
	v_fma_f64 v[32:33], v[32:33], s[26:27], -v[64:65]
	v_fma_f64 v[34:35], v[34:35], s[26:27], -v[66:67]
	;; [unrolled: 1-line block ×4, first 2 shown]
	v_add_f64 v[48:49], v[48:49], v[40:41]
	v_add_f64 v[50:51], v[50:51], v[42:43]
	v_fma_f64 v[56:57], v[44:45], s[24:25], v[56:57]
	v_fma_f64 v[58:59], v[46:47], s[24:25], v[58:59]
	v_add_f64 v[60:61], v[36:37], v[40:41]
	v_add_f64 v[62:63], v[38:39], v[42:43]
	v_fma_f64 v[64:65], v[46:47], s[24:25], v[34:35]
	v_fma_f64 v[66:67], v[44:45], s[24:25], v[32:33]
	;; [unrolled: 4-line block ×3, first 2 shown]
	v_add_f64 v[28:29], v[58:59], v[48:49]
	v_add_f64 v[30:31], v[50:51], -v[56:57]
	v_add_f64 v[32:33], v[64:65], v[60:61]
	v_add_f64 v[34:35], v[62:63], -v[66:67]
	v_add_f64 v[44:45], v[60:61], -v[64:65]
	v_add_f64 v[46:47], v[66:67], v[62:63]
	v_add_f64 v[36:37], v[52:53], -v[40:41]
	v_add_f64 v[38:39], v[42:43], v[54:55]
	v_add_f64 v[40:41], v[40:41], v[52:53]
	v_add_f64 v[42:43], v[54:55], -v[42:43]
	v_add_f64 v[48:49], v[48:49], -v[58:59]
	v_add_f64 v[50:51], v[56:57], v[50:51]
	ds_write_b128 v157, v[24:27]
	ds_write_b128 v157, v[28:31] offset:3024
	ds_write_b128 v157, v[32:35] offset:6048
	;; [unrolled: 1-line block ×6, first 2 shown]
	s_waitcnt lgkmcnt(0)
	s_barrier
	ds_read_b128 v[24:27], v157
	ds_read_b128 v[28:31], v157 offset:3024
	v_mad_u64_u32 v[52:53], s[2:3], s10, v156, 0
	v_mov_b32_e32 v42, s7
	s_waitcnt lgkmcnt(1)
	v_mul_f64 v[33:34], v[22:23], v[26:27]
	v_mul_f64 v[22:23], v[22:23], v[24:25]
	v_mov_b32_e32 v32, v53
	s_mul_hi_u32 s7, s8, 0xfffffd4b
	s_sub_i32 s7, s7, s8
	v_fma_f64 v[24:25], v[20:21], v[24:25], v[33:34]
	v_mad_u64_u32 v[35:36], s[2:3], s11, v156, v[32:33]
	v_mad_u64_u32 v[36:37], s[2:3], s8, v160, 0
	s_mov_b32 s2, 0x7a4ab0dc
	v_fma_f64 v[22:23], v[20:21], v[26:27], -v[22:23]
	s_mov_b32 s3, 0x3f48c498
	v_mov_b32_e32 v20, v37
	v_mad_u64_u32 v[32:33], s[4:5], s9, v160, v[20:21]
	v_mul_f64 v[20:21], v[24:25], s[2:3]
	ds_read_b128 v[24:27], v157 offset:7056
	v_mov_b32_e32 v53, v35
	v_mov_b32_e32 v37, v32
	ds_read_b128 v[32:35], v157 offset:10080
	v_mul_f64 v[22:23], v[22:23], s[2:3]
	s_waitcnt lgkmcnt(1)
	v_mul_f64 v[40:41], v[2:3], v[26:27]
	v_mul_f64 v[2:3], v[2:3], v[24:25]
	v_lshlrev_b64 v[38:39], 4, v[52:53]
	v_lshlrev_b64 v[36:37], 4, v[36:37]
	v_add_co_u32_e32 v38, vcc, s6, v38
	v_addc_co_u32_e32 v39, vcc, v42, v39, vcc
	v_fma_f64 v[24:25], v[0:1], v[24:25], v[40:41]
	v_fma_f64 v[26:27], v[0:1], v[26:27], -v[2:3]
	ds_read_b128 v[0:3], v157 offset:14112
	v_add_co_u32_e32 v36, vcc, v38, v36
	v_addc_co_u32_e32 v37, vcc, v39, v37, vcc
	global_store_dwordx4 v[36:37], v[20:23], off
	s_mul_i32 s4, s9, 0x1b9
	v_mul_f64 v[20:21], v[24:25], s[2:3]
	v_mul_f64 v[22:23], v[26:27], s[2:3]
	ds_read_b128 v[24:27], v157 offset:17136
	s_waitcnt lgkmcnt(1)
	v_mul_f64 v[38:39], v[6:7], v[2:3]
	v_mul_f64 v[6:7], v[6:7], v[0:1]
	s_mul_hi_u32 s5, s8, 0x1b9
	s_add_i32 s5, s5, s4
	s_mul_i32 s4, s8, 0x1b9
	s_lshl_b64 s[4:5], s[4:5], 4
	v_mov_b32_e32 v40, s5
	s_mul_i32 s6, s9, 0xfffffd4b
	v_fma_f64 v[0:1], v[4:5], v[0:1], v[38:39]
	v_fma_f64 v[2:3], v[4:5], v[2:3], -v[6:7]
	v_mul_f64 v[4:5], v[10:11], v[30:31]
	v_mul_f64 v[6:7], v[10:11], v[28:29]
	v_add_co_u32_e32 v10, vcc, s4, v36
	v_addc_co_u32_e32 v11, vcc, v37, v40, vcc
	v_mul_f64 v[0:1], v[0:1], s[2:3]
	v_mul_f64 v[2:3], v[2:3], s[2:3]
	v_fma_f64 v[4:5], v[8:9], v[28:29], v[4:5]
	v_fma_f64 v[6:7], v[8:9], v[30:31], -v[6:7]
	v_add_co_u32_e32 v8, vcc, s4, v10
	v_addc_co_u32_e32 v9, vcc, v11, v40, vcc
	global_store_dwordx4 v[10:11], v[20:23], off
	global_store_dwordx4 v[8:9], v[0:3], off
	s_waitcnt lgkmcnt(0)
	v_mul_f64 v[10:11], v[18:19], v[26:27]
	v_mul_f64 v[0:1], v[4:5], s[2:3]
	;; [unrolled: 1-line block ×6, first 2 shown]
	s_add_i32 s7, s7, s6
	s_mul_i32 s6, s8, 0xfffffd4b
	v_fma_f64 v[10:11], v[16:17], v[24:25], v[10:11]
	s_lshl_b64 s[6:7], s[6:7], 4
	v_mov_b32_e32 v18, s7
	v_fma_f64 v[4:5], v[12:13], v[32:33], v[4:5]
	v_fma_f64 v[6:7], v[12:13], v[34:35], -v[6:7]
	v_fma_f64 v[12:13], v[16:17], v[26:27], -v[14:15]
	v_add_co_u32_e32 v14, vcc, s6, v8
	v_addc_co_u32_e32 v15, vcc, v9, v18, vcc
	v_mul_f64 v[8:9], v[10:11], s[2:3]
	v_mul_f64 v[4:5], v[4:5], s[2:3]
	;; [unrolled: 1-line block ×4, first 2 shown]
	global_store_dwordx4 v[14:15], v[0:3], off
	s_nop 0
	v_add_co_u32_e32 v0, vcc, s4, v14
	v_addc_co_u32_e32 v1, vcc, v15, v40, vcc
	global_store_dwordx4 v[0:1], v[4:7], off
	v_add_co_u32_e32 v0, vcc, s4, v0
	v_addc_co_u32_e32 v1, vcc, v1, v40, vcc
	global_store_dwordx4 v[0:1], v[8:11], off
	s_and_b64 exec, exec, s[0:1]
	s_cbranch_execz .LBB0_31
; %bb.30:
	v_add_co_u32_e32 v10, vcc, 0x1000, v158
	v_addc_co_u32_e32 v11, vcc, 0, v159, vcc
	s_movk_i32 s0, 0x3000
	v_add_co_u32_e32 v12, vcc, s0, v158
	v_addc_co_u32_e32 v13, vcc, 0, v159, vcc
	s_movk_i32 s0, 0x4000
	global_load_dwordx4 v[2:5], v[10:11], off offset:1952
	global_load_dwordx4 v[6:9], v[12:13], off offset:816
	v_add_co_u32_e32 v10, vcc, s0, v158
	v_addc_co_u32_e32 v11, vcc, 0, v159, vcc
	global_load_dwordx4 v[10:13], v[10:11], off offset:3776
	ds_read_b128 v[14:17], v157 offset:6048
	ds_read_b128 v[18:21], v157 offset:13104
	;; [unrolled: 1-line block ×3, first 2 shown]
	v_mov_b32_e32 v32, s7
	v_mov_b32_e32 v33, s5
	s_waitcnt vmcnt(2) lgkmcnt(2)
	v_mul_f64 v[26:27], v[16:17], v[4:5]
	v_mul_f64 v[4:5], v[14:15], v[4:5]
	s_waitcnt vmcnt(1) lgkmcnt(1)
	v_mul_f64 v[28:29], v[20:21], v[8:9]
	v_mul_f64 v[8:9], v[18:19], v[8:9]
	;; [unrolled: 3-line block ×3, first 2 shown]
	v_fma_f64 v[14:15], v[14:15], v[2:3], v[26:27]
	v_fma_f64 v[2:3], v[2:3], v[16:17], -v[4:5]
	v_fma_f64 v[4:5], v[18:19], v[6:7], v[28:29]
	v_fma_f64 v[6:7], v[6:7], v[20:21], -v[8:9]
	;; [unrolled: 2-line block ×3, first 2 shown]
	v_add_co_u32_e32 v12, vcc, s6, v0
	v_addc_co_u32_e32 v13, vcc, v1, v32, vcc
	v_mul_f64 v[0:1], v[14:15], s[2:3]
	v_mul_f64 v[2:3], v[2:3], s[2:3]
	;; [unrolled: 1-line block ×6, first 2 shown]
	v_add_co_u32_e32 v14, vcc, s4, v12
	v_addc_co_u32_e32 v15, vcc, v13, v33, vcc
	v_add_co_u32_e32 v16, vcc, s4, v14
	v_addc_co_u32_e32 v17, vcc, v15, v33, vcc
	global_store_dwordx4 v[12:13], v[0:3], off
	global_store_dwordx4 v[14:15], v[4:7], off
	;; [unrolled: 1-line block ×3, first 2 shown]
.LBB0_31:
	s_endpgm
	.section	.rodata,"a",@progbits
	.p2align	6, 0x0
	.amdhsa_kernel bluestein_single_back_len1323_dim1_dp_op_CI_CI
		.amdhsa_group_segment_fixed_size 21168
		.amdhsa_private_segment_fixed_size 0
		.amdhsa_kernarg_size 104
		.amdhsa_user_sgpr_count 6
		.amdhsa_user_sgpr_private_segment_buffer 1
		.amdhsa_user_sgpr_dispatch_ptr 0
		.amdhsa_user_sgpr_queue_ptr 0
		.amdhsa_user_sgpr_kernarg_segment_ptr 1
		.amdhsa_user_sgpr_dispatch_id 0
		.amdhsa_user_sgpr_flat_scratch_init 0
		.amdhsa_user_sgpr_private_segment_size 0
		.amdhsa_uses_dynamic_stack 0
		.amdhsa_system_sgpr_private_segment_wavefront_offset 0
		.amdhsa_system_sgpr_workgroup_id_x 1
		.amdhsa_system_sgpr_workgroup_id_y 0
		.amdhsa_system_sgpr_workgroup_id_z 0
		.amdhsa_system_sgpr_workgroup_info 0
		.amdhsa_system_vgpr_workitem_id 0
		.amdhsa_next_free_vgpr 215
		.amdhsa_next_free_sgpr 36
		.amdhsa_reserve_vcc 1
		.amdhsa_reserve_flat_scratch 0
		.amdhsa_float_round_mode_32 0
		.amdhsa_float_round_mode_16_64 0
		.amdhsa_float_denorm_mode_32 3
		.amdhsa_float_denorm_mode_16_64 3
		.amdhsa_dx10_clamp 1
		.amdhsa_ieee_mode 1
		.amdhsa_fp16_overflow 0
		.amdhsa_exception_fp_ieee_invalid_op 0
		.amdhsa_exception_fp_denorm_src 0
		.amdhsa_exception_fp_ieee_div_zero 0
		.amdhsa_exception_fp_ieee_overflow 0
		.amdhsa_exception_fp_ieee_underflow 0
		.amdhsa_exception_fp_ieee_inexact 0
		.amdhsa_exception_int_div_zero 0
	.end_amdhsa_kernel
	.text
.Lfunc_end0:
	.size	bluestein_single_back_len1323_dim1_dp_op_CI_CI, .Lfunc_end0-bluestein_single_back_len1323_dim1_dp_op_CI_CI
                                        ; -- End function
	.section	.AMDGPU.csdata,"",@progbits
; Kernel info:
; codeLenInByte = 11444
; NumSgprs: 40
; NumVgprs: 215
; ScratchSize: 0
; MemoryBound: 0
; FloatMode: 240
; IeeeMode: 1
; LDSByteSize: 21168 bytes/workgroup (compile time only)
; SGPRBlocks: 4
; VGPRBlocks: 53
; NumSGPRsForWavesPerEU: 40
; NumVGPRsForWavesPerEU: 215
; Occupancy: 1
; WaveLimiterHint : 1
; COMPUTE_PGM_RSRC2:SCRATCH_EN: 0
; COMPUTE_PGM_RSRC2:USER_SGPR: 6
; COMPUTE_PGM_RSRC2:TRAP_HANDLER: 0
; COMPUTE_PGM_RSRC2:TGID_X_EN: 1
; COMPUTE_PGM_RSRC2:TGID_Y_EN: 0
; COMPUTE_PGM_RSRC2:TGID_Z_EN: 0
; COMPUTE_PGM_RSRC2:TIDIG_COMP_CNT: 0
	.type	__hip_cuid_98dc8f989434ba88,@object ; @__hip_cuid_98dc8f989434ba88
	.section	.bss,"aw",@nobits
	.globl	__hip_cuid_98dc8f989434ba88
__hip_cuid_98dc8f989434ba88:
	.byte	0                               ; 0x0
	.size	__hip_cuid_98dc8f989434ba88, 1

	.ident	"AMD clang version 19.0.0git (https://github.com/RadeonOpenCompute/llvm-project roc-6.4.0 25133 c7fe45cf4b819c5991fe208aaa96edf142730f1d)"
	.section	".note.GNU-stack","",@progbits
	.addrsig
	.addrsig_sym __hip_cuid_98dc8f989434ba88
	.amdgpu_metadata
---
amdhsa.kernels:
  - .args:
      - .actual_access:  read_only
        .address_space:  global
        .offset:         0
        .size:           8
        .value_kind:     global_buffer
      - .actual_access:  read_only
        .address_space:  global
        .offset:         8
        .size:           8
        .value_kind:     global_buffer
      - .actual_access:  read_only
        .address_space:  global
        .offset:         16
        .size:           8
        .value_kind:     global_buffer
      - .actual_access:  read_only
        .address_space:  global
        .offset:         24
        .size:           8
        .value_kind:     global_buffer
      - .actual_access:  read_only
        .address_space:  global
        .offset:         32
        .size:           8
        .value_kind:     global_buffer
      - .offset:         40
        .size:           8
        .value_kind:     by_value
      - .address_space:  global
        .offset:         48
        .size:           8
        .value_kind:     global_buffer
      - .address_space:  global
        .offset:         56
        .size:           8
        .value_kind:     global_buffer
      - .address_space:  global
        .offset:         64
        .size:           8
        .value_kind:     global_buffer
      - .address_space:  global
        .offset:         72
        .size:           8
        .value_kind:     global_buffer
      - .offset:         80
        .size:           4
        .value_kind:     by_value
      - .address_space:  global
        .offset:         88
        .size:           8
        .value_kind:     global_buffer
      - .address_space:  global
        .offset:         96
        .size:           8
        .value_kind:     global_buffer
    .group_segment_fixed_size: 21168
    .kernarg_segment_align: 8
    .kernarg_segment_size: 104
    .language:       OpenCL C
    .language_version:
      - 2
      - 0
    .max_flat_workgroup_size: 189
    .name:           bluestein_single_back_len1323_dim1_dp_op_CI_CI
    .private_segment_fixed_size: 0
    .sgpr_count:     40
    .sgpr_spill_count: 0
    .symbol:         bluestein_single_back_len1323_dim1_dp_op_CI_CI.kd
    .uniform_work_group_size: 1
    .uses_dynamic_stack: false
    .vgpr_count:     215
    .vgpr_spill_count: 0
    .wavefront_size: 64
amdhsa.target:   amdgcn-amd-amdhsa--gfx906
amdhsa.version:
  - 1
  - 2
...

	.end_amdgpu_metadata
